;; amdgpu-corpus repo=ROCm/bitsandbytes kind=harvested arch=n/a opt=n/a
	.text
	.amdgcn_target "amdgcn-amd-amdhsa--gfx942"
	.amdhsa_code_object_version 6
	.protected	_Z27kspmm_coo_very_sparse_naiveI6__halfLi32ELi16EEvPiS1_S1_S1_S1_PS0_PT_S2_Pfiiii ; -- Begin function _Z27kspmm_coo_very_sparse_naiveI6__halfLi32ELi16EEvPiS1_S1_S1_S1_PS0_PT_S2_Pfiiii
	.globl	_Z27kspmm_coo_very_sparse_naiveI6__halfLi32ELi16EEvPiS1_S1_S1_S1_PS0_PT_S2_Pfiiii
	.p2align	8
	.type	_Z27kspmm_coo_very_sparse_naiveI6__halfLi32ELi16EEvPiS1_S1_S1_S1_PS0_PT_S2_Pfiiii,@function
_Z27kspmm_coo_very_sparse_naiveI6__halfLi32ELi16EEvPiS1_S1_S1_S1_PS0_PT_S2_Pfiiii: ; @_Z27kspmm_coo_very_sparse_naiveI6__halfLi32ELi16EEvPiS1_S1_S1_S1_PS0_PT_S2_Pfiiii
; %bb.0:
	s_load_dwordx16 s[60:75], s[0:1], 0x0
	s_mov_b32 s3, 0
	s_lshl_b64 s[4:5], s[2:3], 2
	s_waitcnt lgkmcnt(0)
	s_add_u32 s8, s60, s4
	s_addc_u32 s9, s61, s5
	s_add_u32 s4, s62, s4
	s_addc_u32 s5, s63, s5
	s_load_dword s6, s[4:5], 0x0
	s_load_dword s33, s[8:9], 0x0
	s_mov_b32 s4, 0
	s_waitcnt lgkmcnt(0)
	s_cmp_eq_u32 s6, 0
	s_cbranch_scc1 .LBB33_2
; %bb.1:
	s_ashr_i32 s7, s6, 31
	s_lshl_b64 s[4:5], s[6:7], 2
	s_add_u32 s2, s64, s4
	s_addc_u32 s5, s65, s5
	s_add_u32 s4, s2, -4
	s_addc_u32 s5, s5, -1
	s_load_dword s4, s[4:5], 0x0
.LBB33_2:
	s_waitcnt lgkmcnt(0)
	s_ashr_i32 s5, s4, 31
	s_lshl_b64 s[6:7], s[4:5], 2
	s_add_u32 s8, s66, s6
	s_addc_u32 s9, s67, s7
	s_cmp_lt_i32 s33, 1
	s_cselect_b64 s[12:13], -1, 0
	s_cmp_gt_i32 s33, 0
	v_mov_b32_e32 v1, 0
	v_mov_b32_e32 v2, 0
	s_cbranch_scc0 .LBB33_4
; %bb.3:
	s_lshl_b64 s[2:3], s[4:5], 1
	s_add_u32 s2, s70, s2
	s_addc_u32 s3, s71, s3
	v_mov_b32_e32 v2, 0
	global_load_ushort v2, v2, s[2:3]
	s_add_u32 s2, s68, s6
	s_addc_u32 s3, s69, s7
	s_load_dword s3, s[2:3], 0x0
.LBB33_4:
	s_nop 0
	s_load_dword s8, s[8:9], 0x0
	s_waitcnt vmcnt(0)
	scratch_store_short off, v2, off
	s_waitcnt lgkmcnt(0)
	v_mov_b32_e32 v2, s3
	s_mov_b32 s2, 0
	s_cmp_lt_i32 s33, 2
	s_mov_b32 s3, 0
	scratch_store_dword off, v2, off offset:64
	s_cbranch_scc1 .LBB33_6
; %bb.5:
	s_lshl_b64 s[10:11], s[4:5], 1
	s_add_u32 s10, s70, s10
	s_addc_u32 s11, s71, s11
	v_mov_b32_e32 v1, 0
	global_load_ushort v1, v1, s[10:11] offset:2
	s_add_u32 s10, s68, s6
	s_addc_u32 s11, s69, s7
	s_load_dword s3, s[10:11], 0x4
.LBB33_6:
	s_waitcnt vmcnt(0)
	scratch_store_short off, v1, off offset:2
	s_waitcnt lgkmcnt(0)
	v_mov_b32_e32 v1, s3
	scratch_store_dword off, v1, off offset:68
	s_cmp_lt_i32 s33, 3
	v_mov_b32_e32 v1, 0
	v_mov_b32_e32 v2, 0
	s_cbranch_scc1 .LBB33_8
; %bb.7:
	s_lshl_b64 s[2:3], s[4:5], 1
	s_add_u32 s2, s70, s2
	s_addc_u32 s3, s71, s3
	v_mov_b32_e32 v2, 0
	global_load_ushort v2, v2, s[2:3] offset:4
	s_add_u32 s2, s68, s6
	s_addc_u32 s3, s69, s7
	s_load_dword s2, s[2:3], 0x8
.LBB33_8:
	s_waitcnt vmcnt(0)
	scratch_store_short off, v2, off offset:4
	s_waitcnt lgkmcnt(0)
	v_mov_b32_e32 v2, s2
	s_mov_b32 s2, 0
	s_cmp_lt_i32 s33, 4
	s_mov_b32 s3, 0
	scratch_store_dword off, v2, off offset:72
	s_cbranch_scc1 .LBB33_10
; %bb.9:
	s_lshl_b64 s[10:11], s[4:5], 1
	s_add_u32 s10, s70, s10
	s_addc_u32 s11, s71, s11
	v_mov_b32_e32 v1, 0
	global_load_ushort v1, v1, s[10:11] offset:6
	s_add_u32 s10, s68, s6
	s_addc_u32 s11, s69, s7
	s_load_dword s3, s[10:11], 0xc
.LBB33_10:
	s_waitcnt vmcnt(0)
	scratch_store_short off, v1, off offset:6
	s_waitcnt lgkmcnt(0)
	v_mov_b32_e32 v1, s3
	scratch_store_dword off, v1, off offset:76
	s_cmp_lt_i32 s33, 5
	v_mov_b32_e32 v1, 0
	v_mov_b32_e32 v2, 0
	s_cbranch_scc1 .LBB33_12
; %bb.11:
	s_lshl_b64 s[2:3], s[4:5], 1
	s_add_u32 s2, s70, s2
	s_addc_u32 s3, s71, s3
	v_mov_b32_e32 v2, 0
	global_load_ushort v2, v2, s[2:3] offset:8
	s_add_u32 s2, s68, s6
	s_addc_u32 s3, s69, s7
	s_load_dword s2, s[2:3], 0x10
.LBB33_12:
	s_waitcnt vmcnt(0)
	scratch_store_short off, v2, off offset:8
	s_waitcnt lgkmcnt(0)
	v_mov_b32_e32 v2, s2
	s_mov_b32 s2, 0
	s_cmp_lt_i32 s33, 6
	s_mov_b32 s3, 0
	scratch_store_dword off, v2, off offset:80
	s_cbranch_scc1 .LBB33_14
; %bb.13:
	s_lshl_b64 s[10:11], s[4:5], 1
	s_add_u32 s10, s70, s10
	s_addc_u32 s11, s71, s11
	v_mov_b32_e32 v1, 0
	global_load_ushort v1, v1, s[10:11] offset:10
	s_add_u32 s10, s68, s6
	s_addc_u32 s11, s69, s7
	s_load_dword s3, s[10:11], 0x14
.LBB33_14:
	s_waitcnt vmcnt(0)
	scratch_store_short off, v1, off offset:10
	s_waitcnt lgkmcnt(0)
	v_mov_b32_e32 v1, s3
	scratch_store_dword off, v1, off offset:84
	s_cmp_lt_i32 s33, 7
	v_mov_b32_e32 v1, 0
	v_mov_b32_e32 v2, 0
	s_cbranch_scc1 .LBB33_16
; %bb.15:
	s_lshl_b64 s[2:3], s[4:5], 1
	s_add_u32 s2, s70, s2
	s_addc_u32 s3, s71, s3
	v_mov_b32_e32 v2, 0
	global_load_ushort v2, v2, s[2:3] offset:12
	s_add_u32 s2, s68, s6
	s_addc_u32 s3, s69, s7
	s_load_dword s2, s[2:3], 0x18
.LBB33_16:
	s_waitcnt vmcnt(0)
	scratch_store_short off, v2, off offset:12
	s_waitcnt lgkmcnt(0)
	v_mov_b32_e32 v2, s2
	s_mov_b32 s2, 0
	s_cmp_lt_i32 s33, 8
	s_mov_b32 s3, 0
	scratch_store_dword off, v2, off offset:88
	s_cbranch_scc1 .LBB33_18
; %bb.17:
	s_lshl_b64 s[10:11], s[4:5], 1
	s_add_u32 s10, s70, s10
	s_addc_u32 s11, s71, s11
	v_mov_b32_e32 v1, 0
	global_load_ushort v1, v1, s[10:11] offset:14
	s_add_u32 s10, s68, s6
	s_addc_u32 s11, s69, s7
	s_load_dword s3, s[10:11], 0x1c
.LBB33_18:
	s_waitcnt vmcnt(0)
	scratch_store_short off, v1, off offset:14
	s_waitcnt lgkmcnt(0)
	v_mov_b32_e32 v1, s3
	scratch_store_dword off, v1, off offset:92
	s_cmp_lt_i32 s33, 9
	v_mov_b32_e32 v1, 0
	v_mov_b32_e32 v2, 0
	s_cbranch_scc1 .LBB33_20
; %bb.19:
	s_lshl_b64 s[2:3], s[4:5], 1
	s_add_u32 s2, s70, s2
	s_addc_u32 s3, s71, s3
	v_mov_b32_e32 v2, 0
	global_load_ushort v2, v2, s[2:3] offset:16
	s_add_u32 s2, s68, s6
	s_addc_u32 s3, s69, s7
	s_load_dword s2, s[2:3], 0x20
.LBB33_20:
	s_waitcnt vmcnt(0)
	scratch_store_short off, v2, off offset:16
	s_waitcnt lgkmcnt(0)
	v_mov_b32_e32 v2, s2
	s_mov_b32 s2, 0
	s_cmp_lt_i32 s33, 10
	s_mov_b32 s3, 0
	scratch_store_dword off, v2, off offset:96
	s_cbranch_scc1 .LBB33_22
; %bb.21:
	s_lshl_b64 s[10:11], s[4:5], 1
	s_add_u32 s10, s70, s10
	s_addc_u32 s11, s71, s11
	v_mov_b32_e32 v1, 0
	global_load_ushort v1, v1, s[10:11] offset:18
	s_add_u32 s10, s68, s6
	s_addc_u32 s11, s69, s7
	s_load_dword s3, s[10:11], 0x24
.LBB33_22:
	s_waitcnt vmcnt(0)
	scratch_store_short off, v1, off offset:18
	s_waitcnt lgkmcnt(0)
	v_mov_b32_e32 v1, s3
	scratch_store_dword off, v1, off offset:100
	s_cmp_lt_i32 s33, 11
	v_mov_b32_e32 v1, 0
	v_mov_b32_e32 v2, 0
	s_cbranch_scc1 .LBB33_24
; %bb.23:
	s_lshl_b64 s[2:3], s[4:5], 1
	s_add_u32 s2, s70, s2
	s_addc_u32 s3, s71, s3
	v_mov_b32_e32 v2, 0
	global_load_ushort v2, v2, s[2:3] offset:20
	s_add_u32 s2, s68, s6
	s_addc_u32 s3, s69, s7
	s_load_dword s2, s[2:3], 0x28
.LBB33_24:
	s_waitcnt vmcnt(0)
	scratch_store_short off, v2, off offset:20
	s_waitcnt lgkmcnt(0)
	v_mov_b32_e32 v2, s2
	s_mov_b32 s2, 0
	s_cmp_lt_i32 s33, 12
	s_mov_b32 s3, 0
	scratch_store_dword off, v2, off offset:104
	s_cbranch_scc1 .LBB33_26
; %bb.25:
	s_lshl_b64 s[10:11], s[4:5], 1
	s_add_u32 s10, s70, s10
	s_addc_u32 s11, s71, s11
	v_mov_b32_e32 v1, 0
	global_load_ushort v1, v1, s[10:11] offset:22
	s_add_u32 s10, s68, s6
	s_addc_u32 s11, s69, s7
	s_load_dword s3, s[10:11], 0x2c
.LBB33_26:
	s_waitcnt vmcnt(0)
	scratch_store_short off, v1, off offset:22
	s_waitcnt lgkmcnt(0)
	v_mov_b32_e32 v1, s3
	scratch_store_dword off, v1, off offset:108
	s_cmp_lt_i32 s33, 13
	v_mov_b32_e32 v1, 0
	v_mov_b32_e32 v2, 0
	s_cbranch_scc1 .LBB33_28
; %bb.27:
	s_lshl_b64 s[2:3], s[4:5], 1
	s_add_u32 s2, s70, s2
	s_addc_u32 s3, s71, s3
	v_mov_b32_e32 v2, 0
	global_load_ushort v2, v2, s[2:3] offset:24
	s_add_u32 s2, s68, s6
	s_addc_u32 s3, s69, s7
	s_load_dword s2, s[2:3], 0x30
.LBB33_28:
	s_waitcnt vmcnt(0)
	scratch_store_short off, v2, off offset:24
	s_waitcnt lgkmcnt(0)
	v_mov_b32_e32 v2, s2
	s_mov_b32 s2, 0
	s_cmp_lt_i32 s33, 14
	s_mov_b32 s3, 0
	scratch_store_dword off, v2, off offset:112
	s_cbranch_scc1 .LBB33_30
; %bb.29:
	s_lshl_b64 s[10:11], s[4:5], 1
	s_add_u32 s10, s70, s10
	s_addc_u32 s11, s71, s11
	v_mov_b32_e32 v1, 0
	global_load_ushort v1, v1, s[10:11] offset:26
	s_add_u32 s10, s68, s6
	s_addc_u32 s11, s69, s7
	s_load_dword s3, s[10:11], 0x34
.LBB33_30:
	s_waitcnt vmcnt(0)
	scratch_store_short off, v1, off offset:26
	s_waitcnt lgkmcnt(0)
	v_mov_b32_e32 v1, s3
	scratch_store_dword off, v1, off offset:116
	s_cmp_lt_i32 s33, 15
	v_mov_b32_e32 v1, 0
	v_mov_b32_e32 v2, 0
	s_cbranch_scc1 .LBB33_32
; %bb.31:
	s_lshl_b64 s[2:3], s[4:5], 1
	s_add_u32 s2, s70, s2
	s_addc_u32 s3, s71, s3
	v_mov_b32_e32 v2, 0
	global_load_ushort v2, v2, s[2:3] offset:28
	s_add_u32 s2, s68, s6
	s_addc_u32 s3, s69, s7
	s_load_dword s2, s[2:3], 0x38
.LBB33_32:
	s_waitcnt vmcnt(0)
	scratch_store_short off, v2, off offset:28
	s_waitcnt lgkmcnt(0)
	v_mov_b32_e32 v2, s2
	s_mov_b32 s2, 0
	s_cmp_lt_i32 s33, 16
	s_mov_b32 s3, 0
	scratch_store_dword off, v2, off offset:120
	s_cbranch_scc1 .LBB33_34
; %bb.33:
	s_lshl_b64 s[10:11], s[4:5], 1
	s_add_u32 s10, s70, s10
	s_addc_u32 s11, s71, s11
	v_mov_b32_e32 v1, 0
	global_load_ushort v1, v1, s[10:11] offset:30
	s_add_u32 s10, s68, s6
	s_addc_u32 s11, s69, s7
	s_load_dword s3, s[10:11], 0x3c
.LBB33_34:
	s_waitcnt vmcnt(0)
	scratch_store_short off, v1, off offset:30
	s_waitcnt lgkmcnt(0)
	v_mov_b32_e32 v1, s3
	scratch_store_dword off, v1, off offset:124
	s_cmp_lt_i32 s33, 17
	v_mov_b32_e32 v1, 0
	v_mov_b32_e32 v2, 0
	s_cbranch_scc1 .LBB33_36
; %bb.35:
	s_lshl_b64 s[2:3], s[4:5], 1
	s_add_u32 s2, s70, s2
	s_addc_u32 s3, s71, s3
	v_mov_b32_e32 v2, 0
	global_load_ushort v2, v2, s[2:3] offset:32
	s_add_u32 s2, s68, s6
	s_addc_u32 s3, s69, s7
	s_load_dword s2, s[2:3], 0x40
.LBB33_36:
	s_waitcnt vmcnt(0)
	scratch_store_short off, v2, off offset:32
	s_waitcnt lgkmcnt(0)
	v_mov_b32_e32 v2, s2
	s_mov_b32 s2, 0
	s_cmp_lt_i32 s33, 18
	s_mov_b32 s3, 0
	scratch_store_dword off, v2, off offset:128
	s_cbranch_scc1 .LBB33_38
; %bb.37:
	s_lshl_b64 s[10:11], s[4:5], 1
	s_add_u32 s10, s70, s10
	s_addc_u32 s11, s71, s11
	v_mov_b32_e32 v1, 0
	global_load_ushort v1, v1, s[10:11] offset:34
	s_add_u32 s10, s68, s6
	s_addc_u32 s11, s69, s7
	s_load_dword s3, s[10:11], 0x44
.LBB33_38:
	s_waitcnt vmcnt(0)
	scratch_store_short off, v1, off offset:34
	s_waitcnt lgkmcnt(0)
	v_mov_b32_e32 v1, s3
	scratch_store_dword off, v1, off offset:132
	s_cmp_lt_i32 s33, 19
	v_mov_b32_e32 v1, 0
	v_mov_b32_e32 v2, 0
	s_cbranch_scc1 .LBB33_40
; %bb.39:
	s_lshl_b64 s[2:3], s[4:5], 1
	s_add_u32 s2, s70, s2
	s_addc_u32 s3, s71, s3
	v_mov_b32_e32 v2, 0
	global_load_ushort v2, v2, s[2:3] offset:36
	s_add_u32 s2, s68, s6
	s_addc_u32 s3, s69, s7
	s_load_dword s2, s[2:3], 0x48
.LBB33_40:
	s_waitcnt vmcnt(0)
	scratch_store_short off, v2, off offset:36
	s_waitcnt lgkmcnt(0)
	v_mov_b32_e32 v2, s2
	s_mov_b32 s2, 0
	s_cmp_lt_i32 s33, 20
	s_mov_b32 s3, 0
	scratch_store_dword off, v2, off offset:136
	s_cbranch_scc1 .LBB33_42
; %bb.41:
	s_lshl_b64 s[10:11], s[4:5], 1
	s_add_u32 s10, s70, s10
	s_addc_u32 s11, s71, s11
	v_mov_b32_e32 v1, 0
	global_load_ushort v1, v1, s[10:11] offset:38
	s_add_u32 s10, s68, s6
	s_addc_u32 s11, s69, s7
	s_load_dword s3, s[10:11], 0x4c
.LBB33_42:
	s_waitcnt vmcnt(0)
	scratch_store_short off, v1, off offset:38
	s_waitcnt lgkmcnt(0)
	v_mov_b32_e32 v1, s3
	scratch_store_dword off, v1, off offset:140
	s_cmp_lt_i32 s33, 21
	v_mov_b32_e32 v1, 0
	v_mov_b32_e32 v2, 0
	s_cbranch_scc1 .LBB33_44
; %bb.43:
	s_lshl_b64 s[2:3], s[4:5], 1
	s_add_u32 s2, s70, s2
	s_addc_u32 s3, s71, s3
	v_mov_b32_e32 v2, 0
	global_load_ushort v2, v2, s[2:3] offset:40
	s_add_u32 s2, s68, s6
	s_addc_u32 s3, s69, s7
	s_load_dword s2, s[2:3], 0x50
.LBB33_44:
	s_waitcnt vmcnt(0)
	scratch_store_short off, v2, off offset:40
	s_waitcnt lgkmcnt(0)
	v_mov_b32_e32 v2, s2
	s_mov_b32 s2, 0
	s_cmp_lt_i32 s33, 22
	s_mov_b32 s3, 0
	scratch_store_dword off, v2, off offset:144
	s_cbranch_scc1 .LBB33_46
; %bb.45:
	s_lshl_b64 s[10:11], s[4:5], 1
	s_add_u32 s10, s70, s10
	s_addc_u32 s11, s71, s11
	v_mov_b32_e32 v1, 0
	global_load_ushort v1, v1, s[10:11] offset:42
	s_add_u32 s10, s68, s6
	s_addc_u32 s11, s69, s7
	s_load_dword s3, s[10:11], 0x54
.LBB33_46:
	s_waitcnt vmcnt(0)
	scratch_store_short off, v1, off offset:42
	s_waitcnt lgkmcnt(0)
	v_mov_b32_e32 v1, s3
	scratch_store_dword off, v1, off offset:148
	s_cmp_lt_i32 s33, 23
	v_mov_b32_e32 v1, 0
	v_mov_b32_e32 v2, 0
	s_cbranch_scc1 .LBB33_48
; %bb.47:
	s_lshl_b64 s[2:3], s[4:5], 1
	s_add_u32 s2, s70, s2
	s_addc_u32 s3, s71, s3
	v_mov_b32_e32 v2, 0
	global_load_ushort v2, v2, s[2:3] offset:44
	s_add_u32 s2, s68, s6
	s_addc_u32 s3, s69, s7
	s_load_dword s2, s[2:3], 0x58
.LBB33_48:
	s_waitcnt vmcnt(0)
	scratch_store_short off, v2, off offset:44
	s_waitcnt lgkmcnt(0)
	v_mov_b32_e32 v2, s2
	s_mov_b32 s2, 0
	s_cmp_lt_i32 s33, 24
	s_mov_b32 s3, 0
	scratch_store_dword off, v2, off offset:152
	s_cbranch_scc1 .LBB33_50
; %bb.49:
	s_lshl_b64 s[10:11], s[4:5], 1
	s_add_u32 s10, s70, s10
	s_addc_u32 s11, s71, s11
	v_mov_b32_e32 v1, 0
	global_load_ushort v1, v1, s[10:11] offset:46
	s_add_u32 s10, s68, s6
	s_addc_u32 s11, s69, s7
	s_load_dword s3, s[10:11], 0x5c
.LBB33_50:
	s_waitcnt vmcnt(0)
	scratch_store_short off, v1, off offset:46
	s_waitcnt lgkmcnt(0)
	v_mov_b32_e32 v1, s3
	scratch_store_dword off, v1, off offset:156
	s_cmp_lt_i32 s33, 25
	v_mov_b32_e32 v1, 0
	v_mov_b32_e32 v2, 0
	s_cbranch_scc1 .LBB33_52
; %bb.51:
	s_lshl_b64 s[2:3], s[4:5], 1
	s_add_u32 s2, s70, s2
	s_addc_u32 s3, s71, s3
	v_mov_b32_e32 v2, 0
	global_load_ushort v2, v2, s[2:3] offset:48
	s_add_u32 s2, s68, s6
	s_addc_u32 s3, s69, s7
	s_load_dword s2, s[2:3], 0x60
.LBB33_52:
	s_waitcnt vmcnt(0)
	scratch_store_short off, v2, off offset:48
	s_waitcnt lgkmcnt(0)
	v_mov_b32_e32 v2, s2
	s_mov_b32 s2, 0
	s_cmp_lt_i32 s33, 26
	s_mov_b32 s3, 0
	scratch_store_dword off, v2, off offset:160
	s_cbranch_scc1 .LBB33_54
; %bb.53:
	s_lshl_b64 s[10:11], s[4:5], 1
	s_add_u32 s10, s70, s10
	s_addc_u32 s11, s71, s11
	v_mov_b32_e32 v1, 0
	global_load_ushort v1, v1, s[10:11] offset:50
	s_add_u32 s10, s68, s6
	s_addc_u32 s11, s69, s7
	s_load_dword s3, s[10:11], 0x64
.LBB33_54:
	s_waitcnt vmcnt(0)
	scratch_store_short off, v1, off offset:50
	s_waitcnt lgkmcnt(0)
	v_mov_b32_e32 v1, s3
	scratch_store_dword off, v1, off offset:164
	s_cmp_lt_i32 s33, 27
	v_mov_b32_e32 v1, 0
	v_mov_b32_e32 v2, 0
	s_cbranch_scc1 .LBB33_56
; %bb.55:
	s_lshl_b64 s[2:3], s[4:5], 1
	s_add_u32 s2, s70, s2
	s_addc_u32 s3, s71, s3
	v_mov_b32_e32 v2, 0
	global_load_ushort v2, v2, s[2:3] offset:52
	s_add_u32 s2, s68, s6
	s_addc_u32 s3, s69, s7
	s_load_dword s2, s[2:3], 0x68
.LBB33_56:
	s_waitcnt vmcnt(0)
	scratch_store_short off, v2, off offset:52
	s_waitcnt lgkmcnt(0)
	v_mov_b32_e32 v2, s2
	s_mov_b32 s2, 0
	s_cmp_lt_i32 s33, 28
	s_mov_b32 s3, 0
	scratch_store_dword off, v2, off offset:168
	s_cbranch_scc1 .LBB33_58
; %bb.57:
	s_lshl_b64 s[10:11], s[4:5], 1
	s_add_u32 s10, s70, s10
	s_addc_u32 s11, s71, s11
	v_mov_b32_e32 v1, 0
	global_load_ushort v1, v1, s[10:11] offset:54
	s_add_u32 s10, s68, s6
	s_addc_u32 s11, s69, s7
	s_load_dword s3, s[10:11], 0x6c
.LBB33_58:
	s_waitcnt vmcnt(0)
	scratch_store_short off, v1, off offset:54
	s_waitcnt lgkmcnt(0)
	v_mov_b32_e32 v1, s3
	scratch_store_dword off, v1, off offset:172
	s_cmp_lt_i32 s33, 29
	v_mov_b32_e32 v1, 0
	v_mov_b32_e32 v2, 0
	s_cbranch_scc1 .LBB33_60
; %bb.59:
	s_lshl_b64 s[2:3], s[4:5], 1
	s_add_u32 s2, s70, s2
	s_addc_u32 s3, s71, s3
	v_mov_b32_e32 v2, 0
	global_load_ushort v2, v2, s[2:3] offset:56
	s_add_u32 s2, s68, s6
	s_addc_u32 s3, s69, s7
	s_load_dword s2, s[2:3], 0x70
.LBB33_60:
	s_waitcnt vmcnt(0)
	scratch_store_short off, v2, off offset:56
	s_waitcnt lgkmcnt(0)
	v_mov_b32_e32 v2, s2
	s_mov_b32 s2, 0
	s_cmp_lt_i32 s33, 30
	s_mov_b32 s3, 0
	scratch_store_dword off, v2, off offset:176
	s_cbranch_scc1 .LBB33_62
; %bb.61:
	s_lshl_b64 s[10:11], s[4:5], 1
	s_add_u32 s10, s70, s10
	s_addc_u32 s11, s71, s11
	v_mov_b32_e32 v1, 0
	global_load_ushort v1, v1, s[10:11] offset:58
	s_add_u32 s10, s68, s6
	s_addc_u32 s11, s69, s7
	s_load_dword s3, s[10:11], 0x74
.LBB33_62:
	s_waitcnt vmcnt(0)
	scratch_store_short off, v1, off offset:58
	s_waitcnt lgkmcnt(0)
	v_mov_b32_e32 v1, s3
	scratch_store_dword off, v1, off offset:180
	s_cmp_lt_i32 s33, 31
	v_mov_b32_e32 v1, 0
	v_mov_b32_e32 v2, 0
	s_cbranch_scc1 .LBB33_64
; %bb.63:
	s_lshl_b64 s[2:3], s[4:5], 1
	s_add_u32 s2, s70, s2
	s_addc_u32 s3, s71, s3
	v_mov_b32_e32 v2, 0
	global_load_ushort v2, v2, s[2:3] offset:60
	s_add_u32 s2, s68, s6
	s_addc_u32 s3, s69, s7
	s_load_dword s2, s[2:3], 0x78
.LBB33_64:
	s_waitcnt vmcnt(0)
	scratch_store_short off, v2, off offset:60
	s_waitcnt lgkmcnt(0)
	v_mov_b32_e32 v2, s2
	s_cmp_lt_i32 s33, 32
	s_mov_b32 s2, 0
	scratch_store_dword off, v2, off offset:184
	s_cbranch_scc1 .LBB33_66
; %bb.65:
	s_lshl_b64 s[2:3], s[4:5], 1
	s_add_u32 s2, s70, s2
	s_addc_u32 s3, s71, s3
	v_mov_b32_e32 v1, 0
	global_load_ushort v1, v1, s[2:3] offset:62
	s_add_u32 s2, s68, s6
	s_addc_u32 s3, s69, s7
	s_load_dword s2, s[2:3], 0x7c
.LBB33_66:
	s_nop 0
	s_load_dword s90, s[0:1], 0x54
	v_lshlrev_b32_e32 v2, 5, v0
	s_waitcnt vmcnt(0)
	scratch_store_short off, v1, off offset:62
	s_waitcnt lgkmcnt(0)
	v_mov_b32_e32 v1, s2
	scratch_store_dword off, v1, off offset:188
	v_and_b32_e32 v1, 0x7800, v2
	v_cmp_gt_i32_e32 vcc, s90, v1
	s_and_saveexec_b64 s[2:3], vcc
	s_cbranch_execz .LBB33_250
; %bb.67:
	s_load_dwordx2 s[2:3], s[0:1], 0x40
	s_load_dword s4, s[0:1], 0x64
                                        ; implicit-def: $vgpr85 : SGPR spill to VGPR lane
	s_mul_i32 s92, s8, s90
                                        ; implicit-def: $vgpr84 : SGPR spill to VGPR lane
	v_and_b32_e32 v26, 0x7e0, v2
	v_add_lshl_u32 v2, v0, v1, 2
	s_waitcnt lgkmcnt(0)
	s_cmp_lg_u64 s[2:3], 0
	s_cselect_b64 s[0:1], -1, 0
	v_writelane_b32 v85, s0, 0
	s_and_b32 s91, s4, 0xffff
	v_mov_b32_e32 v3, 0
	v_writelane_b32 v85, s1, 1
	s_lshl_b32 s0, s91, 5
	v_writelane_b32 v85, s0, 2
	s_add_u32 s0, s74, 2
	s_addc_u32 s1, s75, 0
	v_writelane_b32 v85, s0, 3
	v_lshl_add_u64 v[18:19], s[2:3], 0, v[2:3]
	v_lshlrev_b32_e32 v27, 1, v0
	v_writelane_b32 v85, s1, 4
	s_add_u32 s0, s74, 4
	s_addc_u32 s1, s75, 0
	v_writelane_b32 v85, s0, 5
	s_mov_b32 s77, 0
	v_mov_b32_e32 v28, v1
	v_writelane_b32 v85, s1, 6
	s_add_u32 s0, s74, 6
	s_addc_u32 s1, s75, 0
	v_writelane_b32 v85, s0, 7
	s_movk_i32 s59, 0x7ff
	s_mov_b32 s60, 0x5040100
	v_writelane_b32 v85, s1, 8
	s_add_u32 s0, s74, 8
	s_addc_u32 s1, s75, 0
	v_writelane_b32 v85, s0, 9
	s_mov_b64 s[78:79], 0
	s_nop 0
	v_writelane_b32 v85, s1, 10
	s_add_u32 s0, s74, 10
	s_addc_u32 s1, s75, 0
	v_writelane_b32 v85, s0, 11
	s_nop 1
	v_writelane_b32 v85, s1, 12
	s_add_u32 s0, s74, 12
	s_addc_u32 s1, s75, 0
	v_writelane_b32 v85, s0, 13
	s_nop 1
	v_writelane_b32 v85, s1, 14
	s_add_u32 s0, s74, 14
	s_addc_u32 s1, s75, 0
	s_add_u32 s94, s72, 16
	v_writelane_b32 v85, s0, 15
	s_addc_u32 s95, s73, 0
	s_nop 0
	v_writelane_b32 v85, s1, 16
	s_add_u32 s0, s72, 18
	s_addc_u32 s1, s73, 0
	v_writelane_b32 v85, s0, 17
	s_nop 1
	v_writelane_b32 v85, s1, 18
	s_add_u32 s0, s72, 20
	s_addc_u32 s1, s73, 0
	v_writelane_b32 v85, s0, 19
	s_nop 1
	v_writelane_b32 v85, s1, 20
	s_add_u32 s0, s72, 22
	s_addc_u32 s1, s73, 0
	v_writelane_b32 v85, s0, 21
	s_nop 1
	v_writelane_b32 v85, s1, 22
	s_add_u32 s0, s72, 24
	s_addc_u32 s1, s73, 0
	v_writelane_b32 v85, s0, 23
	s_nop 1
	v_writelane_b32 v85, s1, 24
	s_add_u32 s0, s72, 26
	s_addc_u32 s1, s73, 0
	v_writelane_b32 v85, s0, 25
	s_nop 1
	v_writelane_b32 v85, s1, 26
	s_add_u32 s0, s72, 28
	s_addc_u32 s1, s73, 0
	v_writelane_b32 v85, s0, 27
	s_nop 1
	v_writelane_b32 v85, s1, 28
	s_add_u32 s0, s72, 30
	s_addc_u32 s1, s73, 0
	v_writelane_b32 v85, s0, 29
	s_nop 1
	v_writelane_b32 v85, s1, 30
	s_add_u32 s0, s72, 32
	s_addc_u32 s1, s73, 0
	v_writelane_b32 v85, s0, 31
	s_nop 1
	v_writelane_b32 v85, s1, 32
	s_add_u32 s0, s72, 34
	s_addc_u32 s1, s73, 0
	v_writelane_b32 v85, s0, 33
	s_nop 1
	v_writelane_b32 v85, s1, 34
	s_add_u32 s0, s72, 36
	s_addc_u32 s1, s73, 0
	v_writelane_b32 v85, s0, 35
	s_nop 1
	v_writelane_b32 v85, s1, 36
	s_add_u32 s0, s72, 38
	s_addc_u32 s1, s73, 0
	v_writelane_b32 v85, s0, 37
	s_nop 1
	v_writelane_b32 v85, s1, 38
	s_add_u32 s0, s72, 40
	s_addc_u32 s1, s73, 0
	v_writelane_b32 v85, s0, 39
	s_nop 1
	v_writelane_b32 v85, s1, 40
	s_add_u32 s0, s72, 42
	s_addc_u32 s1, s73, 0
	v_writelane_b32 v85, s0, 41
	s_nop 1
	v_writelane_b32 v85, s1, 42
	s_add_u32 s0, s72, 44
	s_addc_u32 s1, s73, 0
	v_writelane_b32 v85, s0, 43
	s_nop 1
	v_writelane_b32 v85, s1, 44
	s_add_u32 s0, s72, 46
	s_addc_u32 s1, s73, 0
	v_writelane_b32 v85, s0, 45
	s_nop 1
	v_writelane_b32 v85, s1, 46
	s_add_u32 s0, s72, 48
	s_addc_u32 s1, s73, 0
	v_writelane_b32 v85, s0, 47
	s_nop 1
	v_writelane_b32 v85, s1, 48
	s_add_u32 s0, s72, 50
	s_addc_u32 s1, s73, 0
	v_writelane_b32 v85, s0, 49
	s_nop 1
	v_writelane_b32 v85, s1, 50
	s_add_u32 s0, s72, 52
	s_addc_u32 s1, s73, 0
	v_writelane_b32 v85, s0, 51
	s_nop 1
	v_writelane_b32 v85, s1, 52
	s_add_u32 s0, s72, 54
	s_addc_u32 s1, s73, 0
	v_writelane_b32 v85, s0, 53
	s_nop 1
	v_writelane_b32 v85, s1, 54
	s_add_u32 s0, s72, 56
	s_addc_u32 s1, s73, 0
	v_writelane_b32 v85, s0, 55
	s_nop 1
	v_writelane_b32 v85, s1, 56
	s_add_u32 s0, s72, 58
	s_addc_u32 s1, s73, 0
	v_writelane_b32 v85, s0, 57
	s_nop 1
	v_writelane_b32 v85, s1, 58
	s_add_u32 s0, s72, 60
	s_addc_u32 s1, s73, 0
	v_writelane_b32 v85, s0, 59
	s_nop 1
	v_writelane_b32 v85, s1, 60
	s_add_u32 s0, s72, 62
	s_addc_u32 s1, s73, 0
	v_writelane_b32 v85, s0, 61
	s_ashr_i32 s93, s92, 31
	s_nop 0
	v_writelane_b32 v85, s1, 62
	s_add_u32 s0, s74, 16
	s_addc_u32 s1, s75, 0
	v_writelane_b32 v85, s0, 63
	s_nop 1
	v_writelane_b32 v84, s1, 0
	s_add_u32 s0, s74, 18
	s_addc_u32 s1, s75, 0
	v_writelane_b32 v84, s0, 1
	;; [unrolled: 5-line block ×24, first 2 shown]
	s_lshl_b32 s76, s91, 2
	s_lshl_b32 s58, s91, 1
	v_writelane_b32 v84, s1, 46
	v_writelane_b32 v84, s12, 47
	s_nop 1
	v_writelane_b32 v84, s13, 48
	s_branch .LBB33_69
.LBB33_68:                              ;   in Loop: Header=BB33_69 Depth=1
	s_or_b64 exec, exec, s[0:1]
	v_readlane_b32 s0, v85, 2
	s_nop 1
	v_add_u32_e32 v28, s0, v28
	v_cmp_le_i32_e32 vcc, s90, v28
	s_or_b64 s[78:79], vcc, s[78:79]
	s_andn2_b64 exec, exec, s[78:79]
	s_cbranch_execz .LBB33_250
.LBB33_69:                              ; =>This Loop Header: Depth=1
                                        ;     Child Loop BB33_72 Depth 2
                                        ;     Child Loop BB33_85 Depth 2
	v_readlane_b32 s0, v85, 0
	v_readlane_b32 s1, v85, 1
	s_andn2_b64 vcc, exec, s[0:1]
	s_cbranch_vccnz .LBB33_75
; %bb.70:                               ;   in Loop: Header=BB33_69 Depth=1
	s_mov_b64 s[0:1], 0
	v_mov_b64_e32 v[2:3], v[18:19]
	v_mov_b32_e32 v4, v27
	v_mov_b32_e32 v5, v0
	s_branch .LBB33_72
.LBB33_71:                              ;   in Loop: Header=BB33_72 Depth=2
	s_or_b64 exec, exec, s[2:3]
	v_add_u32_e32 v5, s91, v5
	v_cmp_lt_u32_e32 vcc, s59, v5
	v_add_u32_e32 v4, s58, v4
	s_or_b64 s[0:1], vcc, s[0:1]
	v_lshl_add_u64 v[2:3], v[2:3], 0, s[76:77]
	s_andn2_b64 exec, exec, s[0:1]
	s_cbranch_execz .LBB33_74
.LBB33_72:                              ;   Parent Loop BB33_69 Depth=1
                                        ; =>  This Inner Loop Header: Depth=2
	v_add_u32_e32 v6, v1, v5
	v_cmp_gt_i32_e32 vcc, s90, v6
	s_and_saveexec_b64 s[2:3], vcc
	s_cbranch_execz .LBB33_71
; %bb.73:                               ;   in Loop: Header=BB33_72 Depth=2
	global_load_dword v6, v[2:3], off
	s_waitcnt vmcnt(0)
	v_cvt_f16_f32_e32 v6, v6
	ds_write_b16 v4, v6
	s_branch .LBB33_71
.LBB33_74:                              ;   in Loop: Header=BB33_69 Depth=1
	s_or_b64 exec, exec, s[0:1]
	s_waitcnt lgkmcnt(0)
	s_barrier
.LBB33_75:                              ;   in Loop: Header=BB33_69 Depth=1
	s_andn2_b64 vcc, exec, s[12:13]
	v_add_u32_e32 v20, v28, v26
	s_cbranch_vccnz .LBB33_77
; %bb.76:                               ;   in Loop: Header=BB33_69 Depth=1
	v_or_b32_e32 v51, 8, v20
	s_mov_b64 s[0:1], 0
	s_mov_b32 s2, 0
	s_branch .LBB33_78
.LBB33_77:                              ;   in Loop: Header=BB33_69 Depth=1
	s_mov_b64 s[0:1], -1
                                        ; implicit-def: $sgpr2
                                        ; implicit-def: $vgpr51
.LBB33_78:                              ;   in Loop: Header=BB33_69 Depth=1
	v_mov_b32_e32 v64, s2
	v_or_b32_e32 v42, 16, v20
	v_or_b32_e32 v32, 24, v20
	v_add_u32_e32 v35, 32, v20
	s_andn2_b64 vcc, exec, s[0:1]
	v_cmp_gt_i32_e64 s[0:1], s90, v42
	v_cmp_le_i32_e64 s[2:3], s90, v42
	v_cmp_gt_i32_e64 s[4:5], s90, v32
	v_cmp_le_i32_e64 s[6:7], s90, v32
	v_cmp_le_i32_e64 s[8:9], s90, v35
	v_mov_b32_e32 v63, v64
	v_mov_b32_e32 v62, v64
	;; [unrolled: 1-line block ×31, first 2 shown]
	s_cbranch_vccnz .LBB33_170
; %bb.79:                               ;   in Loop: Header=BB33_69 Depth=1
	v_or_b32_e32 v2, 1, v20
	v_cmp_gt_i32_e64 s[14:15], s90, v2
	v_or_b32_e32 v2, 2, v20
	v_cmp_gt_i32_e64 s[16:17], s90, v2
	;; [unrolled: 2-line block ×22, first 2 shown]
	v_or_b32_e32 v2, 26, v20
	v_or_b32_e32 v51, 8, v20
	v_writelane_b32 v84, s62, 49
	v_cmp_gt_i32_e32 vcc, s90, v20
	v_cmp_gt_i32_e64 s[10:11], s90, v51
	v_writelane_b32 v84, s63, 50
	v_cmp_gt_i32_e64 s[62:63], s90, v2
	v_or_b32_e32 v2, 27, v20
	v_cmp_le_i32_e64 s[12:13], s90, v51
	v_writelane_b32 v84, s62, 51
	v_ashrrev_i32_e32 v21, 31, v20
	v_mov_b32_e32 v65, 64
	v_writelane_b32 v84, s63, 52
	v_cmp_gt_i32_e64 s[62:63], s90, v2
	v_or_b32_e32 v2, 28, v20
	v_cmp_gt_i32_e64 s[64:65], s90, v2
	v_or_b32_e32 v2, 29, v20
	;; [unrolled: 2-line block ×4, first 2 shown]
	v_writelane_b32 v84, s62, 53
	v_cmp_gt_i32_e64 s[70:71], s90, v2
	v_mov_b32_e32 v66, 0
	v_mov_b32_e32 v29, 0
	s_mov_b32 s61, s33
	v_mov_b32_e32 v30, 0
	v_mov_b32_e32 v31, 0
	;; [unrolled: 1-line block ×31, first 2 shown]
	v_writelane_b32 v84, s63, 54
	s_branch .LBB33_85
.LBB33_80:                              ;   in Loop: Header=BB33_85 Depth=2
	s_or_b64 exec, exec, s[84:85]
	s_waitcnt vmcnt(0)
	v_fma_mixlo_f16 v38, v14, v76, v38 op_sel_hi:[1,0,1]
	v_fma_mixlo_f16 v37, v81, v76, v37 op_sel_hi:[1,0,1]
	;; [unrolled: 1-line block ×8, first 2 shown]
.LBB33_81:                              ;   in Loop: Header=BB33_85 Depth=2
	s_or_b64 exec, exec, s[82:83]
	s_waitcnt vmcnt(0)
	v_fma_mixlo_f16 v47, v10, v76, v47 op_sel_hi:[1,0,1]
	v_fma_mixlo_f16 v46, v77, v76, v46 op_sel_hi:[1,0,1]
	;; [unrolled: 1-line block ×8, first 2 shown]
.LBB33_82:                              ;   in Loop: Header=BB33_85 Depth=2
	s_or_b64 exec, exec, s[80:81]
	v_fma_mixlo_f16 v56, v6, v76, v56 op_sel_hi:[1,0,1]
	v_fma_mixlo_f16 v55, v72, v76, v55 op_sel_hi:[1,0,1]
	;; [unrolled: 1-line block ×7, first 2 shown]
	s_waitcnt vmcnt(0)
	v_fma_mixlo_f16 v48, v75, v76, v48 op_sel_hi:[1,0,1]
.LBB33_83:                              ;   in Loop: Header=BB33_85 Depth=2
	s_or_b64 exec, exec, s[98:99]
	s_waitcnt vmcnt(0)
	v_fma_mixlo_f16 v64, v2, v71, v64 op_sel_hi:[1,1,1]
	v_fma_mixlo_f16 v63, v67, v71, v63 op_sel_hi:[1,1,1]
	;; [unrolled: 1-line block ×8, first 2 shown]
.LBB33_84:                              ;   in Loop: Header=BB33_85 Depth=2
	s_or_b64 exec, exec, s[96:97]
	s_add_i32 s61, s61, -1
	v_add_u32_e32 v65, 4, v65
	s_cmp_eq_u32 s61, 0
	v_add_u32_e32 v66, 2, v66
	s_cbranch_scc1 .LBB33_169
.LBB33_85:                              ;   Parent Loop BB33_69 Depth=1
                                        ; =>  This Inner Loop Header: Depth=2
	s_and_saveexec_b64 s[96:97], vcc
	s_cbranch_execz .LBB33_84
; %bb.86:                               ;   in Loop: Header=BB33_85 Depth=2
	scratch_load_dword v2, v65, off
	s_mov_b64 s[82:83], 0
                                        ; implicit-def: $vgpr67
                                        ; implicit-def: $vgpr68
                                        ; implicit-def: $vgpr69
                                        ; implicit-def: $vgpr6_vgpr7
                                        ; implicit-def: $sgpr84
	s_waitcnt vmcnt(0)
	v_mul_lo_u32 v22, v2, s90
	v_add_u32_e32 v8, v20, v22
                                        ; implicit-def: $vgpr2
	s_and_saveexec_b64 s[80:81], s[12:13]
	s_xor_b64 s[80:81], exec, s[80:81]
	s_cbranch_execz .LBB33_104
; %bb.87:                               ;   in Loop: Header=BB33_85 Depth=2
	v_ashrrev_i32_e32 v9, 31, v8
	v_lshl_add_u64 v[8:9], v[8:9], 1, s[72:73]
	global_load_ushort v2, v[8:9], off
	v_mov_b32_e32 v3, 0
	v_mov_b32_e32 v67, 0
	s_and_saveexec_b64 s[82:83], s[14:15]
	s_cbranch_execz .LBB33_89
; %bb.88:                               ;   in Loop: Header=BB33_85 Depth=2
	global_load_ushort v67, v[8:9], off offset:2
.LBB33_89:                              ;   in Loop: Header=BB33_85 Depth=2
	s_or_b64 exec, exec, s[82:83]
	s_and_saveexec_b64 s[82:83], s[16:17]
	s_cbranch_execz .LBB33_91
; %bb.90:                               ;   in Loop: Header=BB33_85 Depth=2
	global_load_ushort v3, v[8:9], off offset:4
.LBB33_91:                              ;   in Loop: Header=BB33_85 Depth=2
	s_or_b64 exec, exec, s[82:83]
	v_mov_b32_e32 v4, 0
	v_mov_b32_e32 v68, 0
	s_and_saveexec_b64 s[82:83], s[18:19]
	s_cbranch_execz .LBB33_93
; %bb.92:                               ;   in Loop: Header=BB33_85 Depth=2
	global_load_ushort v68, v[8:9], off offset:6
.LBB33_93:                              ;   in Loop: Header=BB33_85 Depth=2
	s_or_b64 exec, exec, s[82:83]
	s_and_saveexec_b64 s[82:83], s[20:21]
	s_cbranch_execz .LBB33_95
; %bb.94:                               ;   in Loop: Header=BB33_85 Depth=2
	global_load_ushort v4, v[8:9], off offset:8
.LBB33_95:                              ;   in Loop: Header=BB33_85 Depth=2
	s_or_b64 exec, exec, s[82:83]
	;; [unrolled: 14-line block ×3, first 2 shown]
	s_mov_b64 s[82:83], 0
                                        ; implicit-def: $vgpr6_vgpr7
	s_and_saveexec_b64 s[84:85], s[26:27]
	s_xor_b64 s[84:85], exec, s[84:85]
; %bb.100:                              ;   in Loop: Header=BB33_85 Depth=2
	s_mov_b64 s[82:83], exec
	v_lshl_add_u64 v[6:7], v[8:9], 0, 14
; %bb.101:                              ;   in Loop: Header=BB33_85 Depth=2
	s_or_b64 exec, exec, s[84:85]
	s_mov_b32 s84, 0
	s_and_b64 s[82:83], s[82:83], exec
                                        ; implicit-def: $vgpr8
	s_andn2_saveexec_b64 s[80:81], s[80:81]
	s_cbranch_execnz .LBB33_105
.LBB33_102:                             ;   in Loop: Header=BB33_85 Depth=2
	s_or_b64 exec, exec, s[80:81]
	v_mov_b32_e32 v70, s84
	s_and_saveexec_b64 s[80:81], s[82:83]
	s_cbranch_execz .LBB33_106
.LBB33_103:                             ;   in Loop: Header=BB33_85 Depth=2
	global_load_ushort v70, v[6:7], off
	s_or_b64 exec, exec, s[80:81]
	scratch_load_ushort v71, v66, off
	s_and_saveexec_b64 s[98:99], s[10:11]
	s_cbranch_execz .LBB33_83
	s_branch .LBB33_107
.LBB33_104:                             ;   in Loop: Header=BB33_85 Depth=2
	s_andn2_saveexec_b64 s[80:81], s[80:81]
	s_cbranch_execz .LBB33_102
.LBB33_105:                             ;   in Loop: Header=BB33_85 Depth=2
	s_waitcnt vmcnt(0)
	v_ashrrev_i32_e32 v2, 31, v8
	v_lshrrev_b32_e32 v2, 29, v2
	v_add_u32_e32 v2, v8, v2
	v_ashrrev_i32_e32 v2, 3, v2
	v_ashrrev_i32_e32 v3, 31, v2
	v_lshl_add_u64 v[6:7], v[2:3], 4, s[72:73]
	global_load_dwordx4 v[2:5], v[6:7], off
	v_lshl_add_u64 v[6:7], v[6:7], 0, 14
	s_or_b64 s[82:83], s[82:83], exec
	s_waitcnt vmcnt(0)
	v_lshrrev_b32_e32 v67, 16, v2
	v_lshrrev_b32_e32 v68, 16, v3
	;; [unrolled: 1-line block ×3, first 2 shown]
	s_or_b64 exec, exec, s[80:81]
	v_mov_b32_e32 v70, s84
	s_and_saveexec_b64 s[80:81], s[82:83]
	s_cbranch_execnz .LBB33_103
.LBB33_106:                             ;   in Loop: Header=BB33_85 Depth=2
	s_or_b64 exec, exec, s[80:81]
	scratch_load_ushort v71, v66, off
	s_and_saveexec_b64 s[98:99], s[10:11]
	s_cbranch_execz .LBB33_83
.LBB33_107:                             ;   in Loop: Header=BB33_85 Depth=2
	s_mov_b64 s[82:83], 0
                                        ; implicit-def: $vgpr6
                                        ; implicit-def: $vgpr72
                                        ; implicit-def: $vgpr73
                                        ; implicit-def: $vgpr74
                                        ; implicit-def: $vgpr10_vgpr11
                                        ; implicit-def: $sgpr84
	s_and_saveexec_b64 s[80:81], s[2:3]
	s_xor_b64 s[80:81], exec, s[80:81]
	s_cbranch_execz .LBB33_118
; %bb.108:                              ;   in Loop: Header=BB33_85 Depth=2
	v_ashrrev_i32_e32 v23, 31, v22
	v_lshl_add_u64 v[12:13], v[20:21], 0, v[22:23]
	v_lshl_add_u64 v[6:7], v[12:13], 1, s[94:95]
	global_load_ushort v6, v[6:7], off
	v_mov_b32_e32 v7, 0
	v_mov_b32_e32 v72, 0
	s_and_saveexec_b64 s[82:83], s[28:29]
	s_cbranch_execz .LBB33_110
; %bb.109:                              ;   in Loop: Header=BB33_85 Depth=2
	v_readlane_b32 s62, v85, 17
	v_readlane_b32 s63, v85, 18
	s_nop 1
	v_lshl_add_u64 v[8:9], v[12:13], 1, s[62:63]
	global_load_ushort v72, v[8:9], off
.LBB33_110:                             ;   in Loop: Header=BB33_85 Depth=2
	s_or_b64 exec, exec, s[82:83]
	s_and_saveexec_b64 s[82:83], s[30:31]
	s_cbranch_execz .LBB33_112
; %bb.111:                              ;   in Loop: Header=BB33_85 Depth=2
	v_readlane_b32 s62, v85, 19
	v_readlane_b32 s63, v85, 20
	s_nop 1
	v_lshl_add_u64 v[8:9], v[12:13], 1, s[62:63]
	global_load_ushort v7, v[8:9], off
.LBB33_112:                             ;   in Loop: Header=BB33_85 Depth=2
	s_or_b64 exec, exec, s[82:83]
	v_mov_b32_e32 v8, 0
	v_mov_b32_e32 v73, 0
	s_and_saveexec_b64 s[82:83], s[34:35]
	s_cbranch_execz .LBB33_114
; %bb.113:                              ;   in Loop: Header=BB33_85 Depth=2
	v_readlane_b32 s62, v85, 21
	v_readlane_b32 s63, v85, 22
	s_nop 1
	v_lshl_add_u64 v[10:11], v[12:13], 1, s[62:63]
	global_load_ushort v73, v[10:11], off
.LBB33_114:                             ;   in Loop: Header=BB33_85 Depth=2
	s_or_b64 exec, exec, s[82:83]
	s_and_saveexec_b64 s[82:83], s[36:37]
	s_cbranch_execz .LBB33_116
; %bb.115:                              ;   in Loop: Header=BB33_85 Depth=2
	v_readlane_b32 s62, v85, 23
	v_readlane_b32 s63, v85, 24
	s_nop 1
	v_lshl_add_u64 v[8:9], v[12:13], 1, s[62:63]
	global_load_ushort v8, v[8:9], off
.LBB33_116:                             ;   in Loop: Header=BB33_85 Depth=2
	s_or_b64 exec, exec, s[82:83]
	v_mov_b32_e32 v9, 0
	v_mov_b32_e32 v74, 0
	s_and_saveexec_b64 s[82:83], s[38:39]
	s_cbranch_execz .LBB33_121
; %bb.117:                              ;   in Loop: Header=BB33_85 Depth=2
	v_readlane_b32 s62, v85, 25
	v_readlane_b32 s63, v85, 26
	s_nop 1
	v_lshl_add_u64 v[10:11], v[12:13], 1, s[62:63]
	global_load_ushort v74, v[10:11], off
	s_or_b64 exec, exec, s[82:83]
	s_and_saveexec_b64 s[82:83], s[40:41]
	s_cbranch_execz .LBB33_123
	s_branch .LBB33_122
.LBB33_118:                             ;   in Loop: Header=BB33_85 Depth=2
	s_andn2_saveexec_b64 s[80:81], s[80:81]
	s_cbranch_execz .LBB33_126
.LBB33_119:                             ;   in Loop: Header=BB33_85 Depth=2
	s_waitcnt vmcnt(0)
	v_add_u32_e32 v6, v51, v22
	v_ashrrev_i32_e32 v7, 31, v6
	v_lshrrev_b32_e32 v7, 29, v7
	v_add_u32_e32 v6, v6, v7
	v_ashrrev_i32_e32 v6, 3, v6
	v_ashrrev_i32_e32 v7, 31, v6
	v_lshl_add_u64 v[10:11], v[6:7], 4, s[72:73]
	global_load_dwordx4 v[6:9], v[10:11], off
	v_lshl_add_u64 v[10:11], v[10:11], 0, 14
	s_or_b64 s[82:83], s[82:83], exec
	s_waitcnt vmcnt(0)
	v_lshrrev_b32_e32 v72, 16, v6
	v_lshrrev_b32_e32 v73, 16, v7
	;; [unrolled: 1-line block ×3, first 2 shown]
	s_or_b64 exec, exec, s[80:81]
	v_mov_b32_e32 v75, s84
	s_and_saveexec_b64 s[80:81], s[82:83]
	s_cbranch_execnz .LBB33_127
.LBB33_120:                             ;   in Loop: Header=BB33_85 Depth=2
	s_or_b64 exec, exec, s[80:81]
	s_waitcnt vmcnt(0)
	v_cvt_f32_f16_e32 v76, v71
	s_and_saveexec_b64 s[80:81], s[0:1]
	s_cbranch_execz .LBB33_82
	s_branch .LBB33_128
.LBB33_121:                             ;   in Loop: Header=BB33_85 Depth=2
	s_or_b64 exec, exec, s[82:83]
	s_and_saveexec_b64 s[82:83], s[40:41]
	s_cbranch_execz .LBB33_123
.LBB33_122:                             ;   in Loop: Header=BB33_85 Depth=2
	v_readlane_b32 s62, v85, 27
	v_readlane_b32 s63, v85, 28
	s_nop 1
	v_lshl_add_u64 v[10:11], v[12:13], 1, s[62:63]
	global_load_ushort v9, v[10:11], off
.LBB33_123:                             ;   in Loop: Header=BB33_85 Depth=2
	s_or_b64 exec, exec, s[82:83]
	s_mov_b64 s[82:83], 0
                                        ; implicit-def: $vgpr10_vgpr11
	s_and_saveexec_b64 s[84:85], s[42:43]
	s_cbranch_execz .LBB33_125
; %bb.124:                              ;   in Loop: Header=BB33_85 Depth=2
	v_readlane_b32 s62, v85, 29
	v_readlane_b32 s63, v85, 30
	s_mov_b64 s[82:83], exec
	s_nop 0
	v_lshl_add_u64 v[10:11], v[12:13], 1, s[62:63]
.LBB33_125:                             ;   in Loop: Header=BB33_85 Depth=2
	s_or_b64 exec, exec, s[84:85]
	s_mov_b32 s84, 0
	s_and_b64 s[82:83], s[82:83], exec
	s_andn2_saveexec_b64 s[80:81], s[80:81]
	s_cbranch_execnz .LBB33_119
.LBB33_126:                             ;   in Loop: Header=BB33_85 Depth=2
	s_or_b64 exec, exec, s[80:81]
	v_mov_b32_e32 v75, s84
	s_and_saveexec_b64 s[80:81], s[82:83]
	s_cbranch_execz .LBB33_120
.LBB33_127:                             ;   in Loop: Header=BB33_85 Depth=2
	global_load_ushort v75, v[10:11], off
	s_or_b64 exec, exec, s[80:81]
	s_waitcnt vmcnt(1)
	v_cvt_f32_f16_e32 v76, v71
	s_and_saveexec_b64 s[80:81], s[0:1]
	s_cbranch_execz .LBB33_82
.LBB33_128:                             ;   in Loop: Header=BB33_85 Depth=2
	s_mov_b64 s[84:85], 0
                                        ; implicit-def: $vgpr10
                                        ; implicit-def: $vgpr77
                                        ; implicit-def: $vgpr78
                                        ; implicit-def: $vgpr79
                                        ; implicit-def: $vgpr14_vgpr15
                                        ; implicit-def: $sgpr86
	s_and_saveexec_b64 s[82:83], s[6:7]
	s_xor_b64 s[82:83], exec, s[82:83]
	s_cbranch_execz .LBB33_139
; %bb.129:                              ;   in Loop: Header=BB33_85 Depth=2
	v_ashrrev_i32_e32 v23, 31, v22
	v_readlane_b32 s62, v85, 31
	v_lshl_add_u64 v[16:17], v[20:21], 0, v[22:23]
	v_readlane_b32 s63, v85, 32
	v_mov_b32_e32 v77, 0
	s_nop 0
	v_lshl_add_u64 v[10:11], v[16:17], 1, s[62:63]
	global_load_ushort v10, v[10:11], off
	v_mov_b32_e32 v11, 0
	s_and_saveexec_b64 s[84:85], s[44:45]
	s_cbranch_execz .LBB33_131
; %bb.130:                              ;   in Loop: Header=BB33_85 Depth=2
	v_readlane_b32 s62, v85, 33
	v_readlane_b32 s63, v85, 34
	s_nop 1
	v_lshl_add_u64 v[12:13], v[16:17], 1, s[62:63]
	global_load_ushort v77, v[12:13], off
.LBB33_131:                             ;   in Loop: Header=BB33_85 Depth=2
	s_or_b64 exec, exec, s[84:85]
	s_and_saveexec_b64 s[84:85], s[46:47]
	s_cbranch_execz .LBB33_133
; %bb.132:                              ;   in Loop: Header=BB33_85 Depth=2
	v_readlane_b32 s62, v85, 35
	v_readlane_b32 s63, v85, 36
	s_nop 1
	v_lshl_add_u64 v[12:13], v[16:17], 1, s[62:63]
	global_load_ushort v11, v[12:13], off
.LBB33_133:                             ;   in Loop: Header=BB33_85 Depth=2
	s_or_b64 exec, exec, s[84:85]
	v_mov_b32_e32 v12, 0
	v_mov_b32_e32 v78, 0
	s_and_saveexec_b64 s[84:85], s[48:49]
	s_cbranch_execz .LBB33_135
; %bb.134:                              ;   in Loop: Header=BB33_85 Depth=2
	v_readlane_b32 s62, v85, 37
	v_readlane_b32 s63, v85, 38
	s_nop 1
	v_lshl_add_u64 v[14:15], v[16:17], 1, s[62:63]
	global_load_ushort v78, v[14:15], off
.LBB33_135:                             ;   in Loop: Header=BB33_85 Depth=2
	s_or_b64 exec, exec, s[84:85]
	s_and_saveexec_b64 s[84:85], s[50:51]
	s_cbranch_execz .LBB33_137
; %bb.136:                              ;   in Loop: Header=BB33_85 Depth=2
	v_readlane_b32 s62, v85, 39
	v_readlane_b32 s63, v85, 40
	s_nop 1
	v_lshl_add_u64 v[12:13], v[16:17], 1, s[62:63]
	global_load_ushort v12, v[12:13], off
.LBB33_137:                             ;   in Loop: Header=BB33_85 Depth=2
	s_or_b64 exec, exec, s[84:85]
	v_mov_b32_e32 v13, 0
	v_mov_b32_e32 v79, 0
	s_and_saveexec_b64 s[84:85], s[52:53]
	s_cbranch_execz .LBB33_142
; %bb.138:                              ;   in Loop: Header=BB33_85 Depth=2
	v_readlane_b32 s62, v85, 41
	v_readlane_b32 s63, v85, 42
	s_nop 1
	v_lshl_add_u64 v[14:15], v[16:17], 1, s[62:63]
	global_load_ushort v79, v[14:15], off
	s_or_b64 exec, exec, s[84:85]
	s_and_saveexec_b64 s[84:85], s[54:55]
	s_cbranch_execz .LBB33_144
	s_branch .LBB33_143
.LBB33_139:                             ;   in Loop: Header=BB33_85 Depth=2
	s_andn2_saveexec_b64 s[82:83], s[82:83]
	s_cbranch_execz .LBB33_147
.LBB33_140:                             ;   in Loop: Header=BB33_85 Depth=2
	s_waitcnt vmcnt(0)
	v_add_u32_e32 v10, v42, v22
	v_ashrrev_i32_e32 v11, 31, v10
	v_lshrrev_b32_e32 v11, 29, v11
	v_add_u32_e32 v10, v10, v11
	v_ashrrev_i32_e32 v10, 3, v10
	v_ashrrev_i32_e32 v11, 31, v10
	v_lshl_add_u64 v[14:15], v[10:11], 4, s[72:73]
	global_load_dwordx4 v[10:13], v[14:15], off
	v_lshl_add_u64 v[14:15], v[14:15], 0, 14
	s_or_b64 s[84:85], s[84:85], exec
	s_waitcnt vmcnt(0)
	v_lshrrev_b32_e32 v77, 16, v10
	v_lshrrev_b32_e32 v78, 16, v11
	;; [unrolled: 1-line block ×3, first 2 shown]
	s_or_b64 exec, exec, s[82:83]
	v_mov_b32_e32 v80, s86
	s_and_saveexec_b64 s[82:83], s[84:85]
	s_cbranch_execnz .LBB33_148
.LBB33_141:                             ;   in Loop: Header=BB33_85 Depth=2
	s_or_b64 exec, exec, s[82:83]
	s_and_saveexec_b64 s[82:83], s[4:5]
	s_cbranch_execz .LBB33_81
	s_branch .LBB33_149
.LBB33_142:                             ;   in Loop: Header=BB33_85 Depth=2
	s_or_b64 exec, exec, s[84:85]
	s_and_saveexec_b64 s[84:85], s[54:55]
	s_cbranch_execz .LBB33_144
.LBB33_143:                             ;   in Loop: Header=BB33_85 Depth=2
	v_readlane_b32 s62, v85, 43
	v_readlane_b32 s63, v85, 44
	s_nop 1
	v_lshl_add_u64 v[14:15], v[16:17], 1, s[62:63]
	global_load_ushort v13, v[14:15], off
.LBB33_144:                             ;   in Loop: Header=BB33_85 Depth=2
	s_or_b64 exec, exec, s[84:85]
	s_mov_b64 s[84:85], 0
                                        ; implicit-def: $vgpr14_vgpr15
	s_and_saveexec_b64 s[86:87], s[56:57]
	s_cbranch_execz .LBB33_146
; %bb.145:                              ;   in Loop: Header=BB33_85 Depth=2
	v_readlane_b32 s62, v85, 45
	v_readlane_b32 s63, v85, 46
	s_mov_b64 s[84:85], exec
	s_nop 0
	v_lshl_add_u64 v[14:15], v[16:17], 1, s[62:63]
.LBB33_146:                             ;   in Loop: Header=BB33_85 Depth=2
	s_or_b64 exec, exec, s[86:87]
	s_mov_b32 s86, 0
	s_and_b64 s[84:85], s[84:85], exec
	s_andn2_saveexec_b64 s[82:83], s[82:83]
	s_cbranch_execnz .LBB33_140
.LBB33_147:                             ;   in Loop: Header=BB33_85 Depth=2
	s_or_b64 exec, exec, s[82:83]
	v_mov_b32_e32 v80, s86
	s_and_saveexec_b64 s[82:83], s[84:85]
	s_cbranch_execz .LBB33_141
.LBB33_148:                             ;   in Loop: Header=BB33_85 Depth=2
	global_load_ushort v80, v[14:15], off
	s_or_b64 exec, exec, s[82:83]
	s_and_saveexec_b64 s[82:83], s[4:5]
	s_cbranch_execz .LBB33_81
.LBB33_149:                             ;   in Loop: Header=BB33_85 Depth=2
	s_mov_b64 s[86:87], 0
                                        ; implicit-def: $vgpr14
                                        ; implicit-def: $vgpr81
                                        ; implicit-def: $vgpr82
                                        ; implicit-def: $vgpr83
                                        ; implicit-def: $vgpr24_vgpr25
                                        ; implicit-def: $sgpr88
	s_and_saveexec_b64 s[84:85], s[8:9]
	s_xor_b64 s[84:85], exec, s[84:85]
	s_cbranch_execz .LBB33_160
; %bb.150:                              ;   in Loop: Header=BB33_85 Depth=2
	v_ashrrev_i32_e32 v23, 31, v22
	v_readlane_b32 s62, v85, 47
	v_lshl_add_u64 v[22:23], v[20:21], 0, v[22:23]
	v_readlane_b32 s63, v85, 48
	v_mov_b32_e32 v81, 0
	s_nop 0
	v_lshl_add_u64 v[14:15], v[22:23], 1, s[62:63]
	global_load_ushort v14, v[14:15], off
	v_mov_b32_e32 v15, 0
	s_mov_b64 s[86:87], exec
	v_readlane_b32 s62, v84, 49
	v_readlane_b32 s63, v84, 50
	s_and_b64 s[62:63], s[86:87], s[62:63]
	s_mov_b64 exec, s[62:63]
	s_cbranch_execz .LBB33_152
; %bb.151:                              ;   in Loop: Header=BB33_85 Depth=2
	v_readlane_b32 s62, v85, 49
	v_readlane_b32 s63, v85, 50
	s_nop 1
	v_lshl_add_u64 v[16:17], v[22:23], 1, s[62:63]
	global_load_ushort v81, v[16:17], off
.LBB33_152:                             ;   in Loop: Header=BB33_85 Depth=2
	s_or_b64 exec, exec, s[86:87]
	s_mov_b64 s[86:87], exec
	v_readlane_b32 s62, v84, 51
	v_readlane_b32 s63, v84, 52
	s_and_b64 s[62:63], s[86:87], s[62:63]
	s_mov_b64 exec, s[62:63]
	s_cbranch_execz .LBB33_154
; %bb.153:                              ;   in Loop: Header=BB33_85 Depth=2
	v_readlane_b32 s62, v85, 51
	v_readlane_b32 s63, v85, 52
	s_nop 1
	v_lshl_add_u64 v[16:17], v[22:23], 1, s[62:63]
	global_load_ushort v15, v[16:17], off
.LBB33_154:                             ;   in Loop: Header=BB33_85 Depth=2
	s_or_b64 exec, exec, s[86:87]
	v_mov_b32_e32 v16, 0
	v_mov_b32_e32 v82, 0
	s_mov_b64 s[86:87], exec
	v_readlane_b32 s62, v84, 53
	v_readlane_b32 s63, v84, 54
	s_and_b64 s[62:63], s[86:87], s[62:63]
	s_mov_b64 exec, s[62:63]
	s_cbranch_execz .LBB33_156
; %bb.155:                              ;   in Loop: Header=BB33_85 Depth=2
	v_readlane_b32 s62, v85, 53
	v_readlane_b32 s63, v85, 54
	s_nop 1
	v_lshl_add_u64 v[24:25], v[22:23], 1, s[62:63]
	global_load_ushort v82, v[24:25], off
.LBB33_156:                             ;   in Loop: Header=BB33_85 Depth=2
	s_or_b64 exec, exec, s[86:87]
	s_and_saveexec_b64 s[86:87], s[64:65]
	s_cbranch_execz .LBB33_158
; %bb.157:                              ;   in Loop: Header=BB33_85 Depth=2
	v_readlane_b32 s62, v85, 55
	v_readlane_b32 s63, v85, 56
	s_nop 1
	v_lshl_add_u64 v[16:17], v[22:23], 1, s[62:63]
	global_load_ushort v16, v[16:17], off
.LBB33_158:                             ;   in Loop: Header=BB33_85 Depth=2
	s_or_b64 exec, exec, s[86:87]
	v_mov_b32_e32 v17, 0
	v_mov_b32_e32 v83, 0
	s_and_saveexec_b64 s[86:87], s[66:67]
	s_cbranch_execz .LBB33_162
; %bb.159:                              ;   in Loop: Header=BB33_85 Depth=2
	v_readlane_b32 s62, v85, 57
	v_readlane_b32 s63, v85, 58
	s_nop 1
	v_lshl_add_u64 v[24:25], v[22:23], 1, s[62:63]
	global_load_ushort v83, v[24:25], off
	s_or_b64 exec, exec, s[86:87]
	s_and_saveexec_b64 s[86:87], s[68:69]
	s_cbranch_execz .LBB33_164
	s_branch .LBB33_163
.LBB33_160:                             ;   in Loop: Header=BB33_85 Depth=2
	s_andn2_saveexec_b64 s[84:85], s[84:85]
	s_cbranch_execz .LBB33_167
.LBB33_161:                             ;   in Loop: Header=BB33_85 Depth=2
	s_waitcnt vmcnt(0)
	v_add_u32_e32 v14, v32, v22
	v_ashrrev_i32_e32 v15, 31, v14
	v_lshrrev_b32_e32 v15, 29, v15
	v_add_u32_e32 v14, v14, v15
	v_ashrrev_i32_e32 v14, 3, v14
	v_ashrrev_i32_e32 v15, 31, v14
	v_lshl_add_u64 v[22:23], v[14:15], 4, s[72:73]
	global_load_dwordx4 v[14:17], v[22:23], off
	v_lshl_add_u64 v[24:25], v[22:23], 0, 14
	s_or_b64 s[86:87], s[86:87], exec
	s_waitcnt vmcnt(0)
	v_lshrrev_b32_e32 v81, 16, v14
	v_lshrrev_b32_e32 v82, 16, v15
	;; [unrolled: 1-line block ×3, first 2 shown]
	s_or_b64 exec, exec, s[84:85]
	v_mov_b32_e32 v22, s88
	s_and_saveexec_b64 s[84:85], s[86:87]
	s_cbranch_execz .LBB33_80
	s_branch .LBB33_168
.LBB33_162:                             ;   in Loop: Header=BB33_85 Depth=2
	s_or_b64 exec, exec, s[86:87]
	s_and_saveexec_b64 s[86:87], s[68:69]
	s_cbranch_execz .LBB33_164
.LBB33_163:                             ;   in Loop: Header=BB33_85 Depth=2
	v_readlane_b32 s62, v85, 59
	v_readlane_b32 s63, v85, 60
	s_nop 1
	v_lshl_add_u64 v[24:25], v[22:23], 1, s[62:63]
	global_load_ushort v17, v[24:25], off
.LBB33_164:                             ;   in Loop: Header=BB33_85 Depth=2
	s_or_b64 exec, exec, s[86:87]
	s_mov_b64 s[86:87], 0
                                        ; implicit-def: $vgpr24_vgpr25
	s_and_saveexec_b64 s[88:89], s[70:71]
	s_cbranch_execz .LBB33_166
; %bb.165:                              ;   in Loop: Header=BB33_85 Depth=2
	v_readlane_b32 s62, v85, 61
	v_readlane_b32 s63, v85, 62
	s_mov_b64 s[86:87], exec
	s_nop 0
	v_lshl_add_u64 v[24:25], v[22:23], 1, s[62:63]
.LBB33_166:                             ;   in Loop: Header=BB33_85 Depth=2
	s_or_b64 exec, exec, s[88:89]
	s_mov_b32 s88, 0
	s_and_b64 s[86:87], s[86:87], exec
                                        ; implicit-def: $vgpr22
	s_andn2_saveexec_b64 s[84:85], s[84:85]
	s_cbranch_execnz .LBB33_161
.LBB33_167:                             ;   in Loop: Header=BB33_85 Depth=2
	s_or_b64 exec, exec, s[84:85]
	v_mov_b32_e32 v22, s88
	s_and_saveexec_b64 s[84:85], s[86:87]
	s_cbranch_execz .LBB33_80
.LBB33_168:                             ;   in Loop: Header=BB33_85 Depth=2
	global_load_ushort v22, v[24:25], off
	s_branch .LBB33_80
.LBB33_169:                             ;   in Loop: Header=BB33_69 Depth=1
	v_readlane_b32 s12, v84, 47
	v_readlane_b32 s13, v84, 48
.LBB33_170:                             ;   in Loop: Header=BB33_69 Depth=1
	v_add_u32_e32 v2, s92, v20
	v_cmp_gt_i32_e64 s[0:1], s90, v51
	v_cmp_le_i32_e32 vcc, s90, v51
	s_and_saveexec_b64 s[2:3], vcc
	s_xor_b64 s[2:3], exec, s[2:3]
	s_cbranch_execz .LBB33_188
; %bb.171:                              ;   in Loop: Header=BB33_69 Depth=1
	v_cmp_gt_i32_e32 vcc, s90, v20
	s_and_saveexec_b64 s[4:5], vcc
	s_cbranch_execz .LBB33_173
; %bb.172:                              ;   in Loop: Header=BB33_69 Depth=1
	v_ashrrev_i32_e32 v3, 31, v2
	v_lshl_add_u64 v[4:5], v[2:3], 1, s[74:75]
	global_load_ushort v3, v[4:5], off
	s_waitcnt vmcnt(0)
	v_add_f16_e32 v3, v3, v64
	global_store_short v[4:5], v3, off
.LBB33_173:                             ;   in Loop: Header=BB33_69 Depth=1
	s_or_b64 exec, exec, s[4:5]
	v_or_b32_e32 v3, 1, v20
	v_cmp_gt_i32_e32 vcc, s90, v3
	s_and_saveexec_b64 s[4:5], vcc
	s_cbranch_execz .LBB33_175
; %bb.174:                              ;   in Loop: Header=BB33_69 Depth=1
	v_readlane_b32 s6, v85, 3
	v_ashrrev_i32_e32 v3, 31, v2
	v_readlane_b32 s7, v85, 4
	s_nop 1
	v_lshl_add_u64 v[4:5], v[2:3], 1, s[6:7]
	global_load_ushort v3, v[4:5], off
	s_waitcnt vmcnt(0)
	v_add_f16_e32 v3, v3, v63
	global_store_short v[4:5], v3, off
.LBB33_175:                             ;   in Loop: Header=BB33_69 Depth=1
	s_or_b64 exec, exec, s[4:5]
	v_or_b32_e32 v3, 2, v20
	v_cmp_gt_i32_e32 vcc, s90, v3
	s_and_saveexec_b64 s[4:5], vcc
	s_cbranch_execz .LBB33_177
; %bb.176:                              ;   in Loop: Header=BB33_69 Depth=1
	v_readlane_b32 s6, v85, 5
	v_ashrrev_i32_e32 v3, 31, v2
	v_readlane_b32 s7, v85, 6
	s_nop 1
	v_lshl_add_u64 v[4:5], v[2:3], 1, s[6:7]
	global_load_ushort v3, v[4:5], off
	s_waitcnt vmcnt(0)
	v_add_f16_e32 v3, v3, v62
	global_store_short v[4:5], v3, off
.LBB33_177:                             ;   in Loop: Header=BB33_69 Depth=1
	;; [unrolled: 16-line block ×7, first 2 shown]
	s_or_b64 exec, exec, s[4:5]
                                        ; implicit-def: $vgpr2
                                        ; implicit-def: $vgpr64
                                        ; implicit-def: $vgpr63
                                        ; implicit-def: $vgpr62
                                        ; implicit-def: $vgpr61
                                        ; implicit-def: $vgpr60
                                        ; implicit-def: $vgpr59
                                        ; implicit-def: $vgpr58
                                        ; implicit-def: $vgpr57
.LBB33_188:                             ;   in Loop: Header=BB33_69 Depth=1
	s_andn2_saveexec_b64 s[2:3], s[2:3]
	s_cbranch_execz .LBB33_190
; %bb.189:                              ;   in Loop: Header=BB33_69 Depth=1
	v_ashrrev_i32_e32 v3, 31, v2
	v_lshrrev_b32_e32 v3, 29, v3
	v_add_u32_e32 v2, v2, v3
	v_ashrrev_i32_e32 v2, 3, v2
	v_ashrrev_i32_e32 v3, 31, v2
	v_lshl_add_u64 v[6:7], v[2:3], 4, s[74:75]
	global_load_dwordx4 v[2:5], v[6:7], off
	s_waitcnt vmcnt(0)
	v_add_f16_e32 v8, v64, v2
	v_add_f16_sdwa v2, v63, v2 dst_sel:DWORD dst_unused:UNUSED_PAD src0_sel:DWORD src1_sel:WORD_1
	v_add_f16_e32 v9, v62, v3
	v_add_f16_sdwa v3, v61, v3 dst_sel:DWORD dst_unused:UNUSED_PAD src0_sel:DWORD src1_sel:WORD_1
	;; [unrolled: 2-line block ×4, first 2 shown]
	v_pack_b32_f16 v5, v11, v5
	v_pack_b32_f16 v4, v10, v4
	;; [unrolled: 1-line block ×4, first 2 shown]
	global_store_dwordx4 v[6:7], v[2:5], off
.LBB33_190:                             ;   in Loop: Header=BB33_69 Depth=1
	s_or_b64 exec, exec, s[2:3]
	v_cmp_gt_i32_e32 vcc, s90, v42
	v_cmp_le_i32_e64 s[2:3], s90, v42
	s_and_saveexec_b64 s[4:5], s[2:3]
	s_xor_b64 s[2:3], exec, s[4:5]
	s_cbranch_execz .LBB33_208
; %bb.191:                              ;   in Loop: Header=BB33_69 Depth=1
	s_and_saveexec_b64 s[4:5], s[0:1]
	s_cbranch_execz .LBB33_193
; %bb.192:                              ;   in Loop: Header=BB33_69 Depth=1
	v_ashrrev_i32_e32 v21, 31, v20
	v_readlane_b32 s0, v85, 63
	v_lshl_add_u64 v[2:3], v[20:21], 0, s[92:93]
	v_readlane_b32 s1, v84, 0
	s_nop 1
	v_lshl_add_u64 v[2:3], v[2:3], 1, s[0:1]
	global_load_ushort v4, v[2:3], off
	s_waitcnt vmcnt(0)
	v_add_f16_e32 v4, v4, v56
	global_store_short v[2:3], v4, off
.LBB33_193:                             ;   in Loop: Header=BB33_69 Depth=1
	s_or_b64 exec, exec, s[4:5]
	v_or_b32_e32 v2, 9, v20
	v_cmp_gt_i32_e64 s[0:1], s90, v2
	s_and_saveexec_b64 s[4:5], s[0:1]
	s_cbranch_execz .LBB33_195
; %bb.194:                              ;   in Loop: Header=BB33_69 Depth=1
	v_ashrrev_i32_e32 v21, 31, v20
	v_readlane_b32 s0, v84, 1
	v_lshl_add_u64 v[2:3], v[20:21], 0, s[92:93]
	v_readlane_b32 s1, v84, 2
	s_nop 1
	v_lshl_add_u64 v[2:3], v[2:3], 1, s[0:1]
	global_load_ushort v4, v[2:3], off
	s_waitcnt vmcnt(0)
	v_add_f16_e32 v4, v4, v55
	global_store_short v[2:3], v4, off
.LBB33_195:                             ;   in Loop: Header=BB33_69 Depth=1
	s_or_b64 exec, exec, s[4:5]
	v_or_b32_e32 v2, 10, v20
	v_cmp_gt_i32_e64 s[0:1], s90, v2
	;; [unrolled: 17-line block ×7, first 2 shown]
	s_and_saveexec_b64 s[4:5], s[0:1]
	s_cbranch_execz .LBB33_207
; %bb.206:                              ;   in Loop: Header=BB33_69 Depth=1
	v_ashrrev_i32_e32 v21, 31, v20
	v_readlane_b32 s0, v84, 13
	v_lshl_add_u64 v[2:3], v[20:21], 0, s[92:93]
	v_readlane_b32 s1, v84, 14
	s_nop 1
	v_lshl_add_u64 v[2:3], v[2:3], 1, s[0:1]
	global_load_ushort v4, v[2:3], off
	s_waitcnt vmcnt(0)
	v_add_f16_e32 v4, v4, v48
	global_store_short v[2:3], v4, off
.LBB33_207:                             ;   in Loop: Header=BB33_69 Depth=1
	s_or_b64 exec, exec, s[4:5]
                                        ; implicit-def: $vgpr56
                                        ; implicit-def: $vgpr55
                                        ; implicit-def: $vgpr54
                                        ; implicit-def: $vgpr53
                                        ; implicit-def: $vgpr52
                                        ; implicit-def: $vgpr50
                                        ; implicit-def: $vgpr49
                                        ; implicit-def: $vgpr48
                                        ; implicit-def: $vgpr51
.LBB33_208:                             ;   in Loop: Header=BB33_69 Depth=1
	s_andn2_saveexec_b64 s[0:1], s[2:3]
	s_cbranch_execz .LBB33_210
; %bb.209:                              ;   in Loop: Header=BB33_69 Depth=1
	v_add_u32_e32 v2, s92, v51
	v_ashrrev_i32_e32 v3, 31, v2
	v_lshrrev_b32_e32 v3, 29, v3
	v_add_u32_e32 v2, v2, v3
	v_ashrrev_i32_e32 v2, 3, v2
	v_ashrrev_i32_e32 v3, 31, v2
	v_lshl_add_u64 v[6:7], v[2:3], 4, s[74:75]
	global_load_ushort v2, v[6:7], off offset:14
	v_perm_b32 v5, v48, v49, s60
	v_perm_b32 v4, v50, v52, s60
	;; [unrolled: 1-line block ×3, first 2 shown]
	s_waitcnt vmcnt(0)
	v_add_f16_e32 v2, v56, v2
	v_perm_b32 v2, v55, v2, s60
	global_store_dwordx4 v[6:7], v[2:5], off
.LBB33_210:                             ;   in Loop: Header=BB33_69 Depth=1
	s_or_b64 exec, exec, s[0:1]
	v_cmp_gt_i32_e64 s[0:1], s90, v32
	v_cmp_le_i32_e64 s[2:3], s90, v32
	s_and_saveexec_b64 s[4:5], s[2:3]
	s_xor_b64 s[2:3], exec, s[4:5]
	s_cbranch_execz .LBB33_228
; %bb.211:                              ;   in Loop: Header=BB33_69 Depth=1
	s_and_saveexec_b64 s[4:5], vcc
	s_cbranch_execz .LBB33_213
; %bb.212:                              ;   in Loop: Header=BB33_69 Depth=1
	v_ashrrev_i32_e32 v21, 31, v20
	v_readlane_b32 s6, v84, 15
	v_lshl_add_u64 v[2:3], v[20:21], 0, s[92:93]
	v_readlane_b32 s7, v84, 16
	s_nop 1
	v_lshl_add_u64 v[2:3], v[2:3], 1, s[6:7]
	global_load_ushort v4, v[2:3], off
	s_waitcnt vmcnt(0)
	v_add_f16_e32 v4, v4, v47
	global_store_short v[2:3], v4, off
.LBB33_213:                             ;   in Loop: Header=BB33_69 Depth=1
	s_or_b64 exec, exec, s[4:5]
	v_or_b32_e32 v2, 17, v20
	v_cmp_gt_i32_e32 vcc, s90, v2
	s_and_saveexec_b64 s[4:5], vcc
	s_cbranch_execz .LBB33_215
; %bb.214:                              ;   in Loop: Header=BB33_69 Depth=1
	v_ashrrev_i32_e32 v21, 31, v20
	v_readlane_b32 s6, v84, 17
	v_lshl_add_u64 v[2:3], v[20:21], 0, s[92:93]
	v_readlane_b32 s7, v84, 18
	s_nop 1
	v_lshl_add_u64 v[2:3], v[2:3], 1, s[6:7]
	global_load_ushort v4, v[2:3], off
	s_waitcnt vmcnt(0)
	v_add_f16_e32 v4, v4, v46
	global_store_short v[2:3], v4, off
.LBB33_215:                             ;   in Loop: Header=BB33_69 Depth=1
	s_or_b64 exec, exec, s[4:5]
	v_or_b32_e32 v2, 18, v20
	v_cmp_gt_i32_e32 vcc, s90, v2
	;; [unrolled: 17-line block ×7, first 2 shown]
	s_and_saveexec_b64 s[4:5], vcc
	s_cbranch_execz .LBB33_227
; %bb.226:                              ;   in Loop: Header=BB33_69 Depth=1
	v_ashrrev_i32_e32 v21, 31, v20
	v_readlane_b32 s6, v84, 29
	v_lshl_add_u64 v[2:3], v[20:21], 0, s[92:93]
	v_readlane_b32 s7, v84, 30
	s_nop 1
	v_lshl_add_u64 v[2:3], v[2:3], 1, s[6:7]
	global_load_ushort v4, v[2:3], off
	s_waitcnt vmcnt(0)
	v_add_f16_e32 v4, v4, v39
	global_store_short v[2:3], v4, off
.LBB33_227:                             ;   in Loop: Header=BB33_69 Depth=1
	s_or_b64 exec, exec, s[4:5]
                                        ; implicit-def: $vgpr47
                                        ; implicit-def: $vgpr46
                                        ; implicit-def: $vgpr45
                                        ; implicit-def: $vgpr44
                                        ; implicit-def: $vgpr43
                                        ; implicit-def: $vgpr41
                                        ; implicit-def: $vgpr40
                                        ; implicit-def: $vgpr39
                                        ; implicit-def: $vgpr42
.LBB33_228:                             ;   in Loop: Header=BB33_69 Depth=1
	s_andn2_saveexec_b64 s[2:3], s[2:3]
	s_cbranch_execz .LBB33_230
; %bb.229:                              ;   in Loop: Header=BB33_69 Depth=1
	v_add_u32_e32 v2, s92, v42
	v_ashrrev_i32_e32 v3, 31, v2
	v_lshrrev_b32_e32 v3, 29, v3
	v_add_u32_e32 v2, v2, v3
	v_ashrrev_i32_e32 v2, 3, v2
	v_ashrrev_i32_e32 v3, 31, v2
	v_lshl_add_u64 v[6:7], v[2:3], 4, s[74:75]
	v_perm_b32 v5, v39, v40, s60
	v_perm_b32 v4, v41, v43, s60
	;; [unrolled: 1-line block ×4, first 2 shown]
	global_store_dwordx4 v[6:7], v[2:5], off
.LBB33_230:                             ;   in Loop: Header=BB33_69 Depth=1
	s_or_b64 exec, exec, s[2:3]
	v_cmp_le_i32_e32 vcc, s90, v35
	s_and_saveexec_b64 s[2:3], vcc
	s_xor_b64 s[2:3], exec, s[2:3]
	s_cbranch_execz .LBB33_248
; %bb.231:                              ;   in Loop: Header=BB33_69 Depth=1
	s_and_saveexec_b64 s[4:5], s[0:1]
	s_cbranch_execz .LBB33_233
; %bb.232:                              ;   in Loop: Header=BB33_69 Depth=1
	v_ashrrev_i32_e32 v21, 31, v20
	v_readlane_b32 s0, v84, 31
	v_lshl_add_u64 v[2:3], v[20:21], 0, s[92:93]
	v_readlane_b32 s1, v84, 32
	s_nop 1
	v_lshl_add_u64 v[2:3], v[2:3], 1, s[0:1]
	global_load_ushort v4, v[2:3], off
	s_waitcnt vmcnt(0)
	v_add_f16_e32 v4, v4, v38
	global_store_short v[2:3], v4, off
.LBB33_233:                             ;   in Loop: Header=BB33_69 Depth=1
	s_or_b64 exec, exec, s[4:5]
	v_or_b32_e32 v2, 25, v20
	v_cmp_gt_i32_e32 vcc, s90, v2
	s_and_saveexec_b64 s[0:1], vcc
	s_cbranch_execz .LBB33_235
; %bb.234:                              ;   in Loop: Header=BB33_69 Depth=1
	v_ashrrev_i32_e32 v21, 31, v20
	v_readlane_b32 s4, v84, 33
	v_lshl_add_u64 v[2:3], v[20:21], 0, s[92:93]
	v_readlane_b32 s5, v84, 34
	s_nop 1
	v_lshl_add_u64 v[2:3], v[2:3], 1, s[4:5]
	global_load_ushort v4, v[2:3], off
	s_waitcnt vmcnt(0)
	v_add_f16_e32 v4, v4, v37
	global_store_short v[2:3], v4, off
.LBB33_235:                             ;   in Loop: Header=BB33_69 Depth=1
	s_or_b64 exec, exec, s[0:1]
	v_or_b32_e32 v2, 26, v20
	v_cmp_gt_i32_e32 vcc, s90, v2
	s_and_saveexec_b64 s[0:1], vcc
	;; [unrolled: 17-line block ×7, first 2 shown]
	s_cbranch_execz .LBB33_247
; %bb.246:                              ;   in Loop: Header=BB33_69 Depth=1
	v_ashrrev_i32_e32 v21, 31, v20
	v_readlane_b32 s4, v84, 45
	v_lshl_add_u64 v[2:3], v[20:21], 0, s[92:93]
	v_readlane_b32 s5, v84, 46
	s_nop 1
	v_lshl_add_u64 v[2:3], v[2:3], 1, s[4:5]
	global_load_ushort v4, v[2:3], off
	s_waitcnt vmcnt(0)
	v_add_f16_e32 v4, v4, v29
	global_store_short v[2:3], v4, off
.LBB33_247:                             ;   in Loop: Header=BB33_69 Depth=1
	s_or_b64 exec, exec, s[0:1]
                                        ; implicit-def: $vgpr38
                                        ; implicit-def: $vgpr37
                                        ; implicit-def: $vgpr36
                                        ; implicit-def: $vgpr34
                                        ; implicit-def: $vgpr33
                                        ; implicit-def: $vgpr31
                                        ; implicit-def: $vgpr30
                                        ; implicit-def: $vgpr29
                                        ; implicit-def: $vgpr32
.LBB33_248:                             ;   in Loop: Header=BB33_69 Depth=1
	s_andn2_saveexec_b64 s[0:1], s[2:3]
	s_cbranch_execz .LBB33_68
; %bb.249:                              ;   in Loop: Header=BB33_69 Depth=1
	v_add_u32_e32 v2, s92, v32
	v_ashrrev_i32_e32 v3, 31, v2
	v_lshrrev_b32_e32 v3, 29, v3
	v_add_u32_e32 v2, v2, v3
	v_ashrrev_i32_e32 v2, 3, v2
	v_ashrrev_i32_e32 v3, 31, v2
	v_lshl_add_u64 v[6:7], v[2:3], 4, s[74:75]
	v_perm_b32 v5, v29, v30, s60
	v_perm_b32 v4, v31, v33, s60
	;; [unrolled: 1-line block ×4, first 2 shown]
	global_store_dwordx4 v[6:7], v[2:5], off
	s_branch .LBB33_68
.LBB33_250:
	s_endpgm
	.section	.rodata,"a",@progbits
	.p2align	6, 0x0
	.amdhsa_kernel _Z27kspmm_coo_very_sparse_naiveI6__halfLi32ELi16EEvPiS1_S1_S1_S1_PS0_PT_S2_Pfiiii
		.amdhsa_group_segment_fixed_size 4096
		.amdhsa_private_segment_fixed_size 208
		.amdhsa_kernarg_size 344
		.amdhsa_user_sgpr_count 2
		.amdhsa_user_sgpr_dispatch_ptr 0
		.amdhsa_user_sgpr_queue_ptr 0
		.amdhsa_user_sgpr_kernarg_segment_ptr 1
		.amdhsa_user_sgpr_dispatch_id 0
		.amdhsa_user_sgpr_kernarg_preload_length 0
		.amdhsa_user_sgpr_kernarg_preload_offset 0
		.amdhsa_user_sgpr_private_segment_size 0
		.amdhsa_uses_dynamic_stack 0
		.amdhsa_enable_private_segment 1
		.amdhsa_system_sgpr_workgroup_id_x 1
		.amdhsa_system_sgpr_workgroup_id_y 0
		.amdhsa_system_sgpr_workgroup_id_z 0
		.amdhsa_system_sgpr_workgroup_info 0
		.amdhsa_system_vgpr_workitem_id 0
		.amdhsa_next_free_vgpr 86
		.amdhsa_next_free_sgpr 100
		.amdhsa_accum_offset 88
		.amdhsa_reserve_vcc 1
		.amdhsa_float_round_mode_32 0
		.amdhsa_float_round_mode_16_64 0
		.amdhsa_float_denorm_mode_32 3
		.amdhsa_float_denorm_mode_16_64 3
		.amdhsa_dx10_clamp 1
		.amdhsa_ieee_mode 1
		.amdhsa_fp16_overflow 0
		.amdhsa_tg_split 0
		.amdhsa_exception_fp_ieee_invalid_op 0
		.amdhsa_exception_fp_denorm_src 0
		.amdhsa_exception_fp_ieee_div_zero 0
		.amdhsa_exception_fp_ieee_overflow 0
		.amdhsa_exception_fp_ieee_underflow 0
		.amdhsa_exception_fp_ieee_inexact 0
		.amdhsa_exception_int_div_zero 0
	.end_amdhsa_kernel
	.section	.text._Z27kspmm_coo_very_sparse_naiveI6__halfLi32ELi16EEvPiS1_S1_S1_S1_PS0_PT_S2_Pfiiii,"axG",@progbits,_Z27kspmm_coo_very_sparse_naiveI6__halfLi32ELi16EEvPiS1_S1_S1_S1_PS0_PT_S2_Pfiiii,comdat
.Lfunc_end33:
	.size	_Z27kspmm_coo_very_sparse_naiveI6__halfLi32ELi16EEvPiS1_S1_S1_S1_PS0_PT_S2_Pfiiii, .Lfunc_end33-_Z27kspmm_coo_very_sparse_naiveI6__halfLi32ELi16EEvPiS1_S1_S1_S1_PS0_PT_S2_Pfiiii
                                        ; -- End function
	.section	.AMDGPU.csdata,"",@progbits
; Kernel info:
; codeLenInByte = 11188
; NumSgprs: 106
; NumVgprs: 86
; NumAgprs: 0
; TotalNumVgprs: 86
; ScratchSize: 208
; MemoryBound: 0
; FloatMode: 240
; IeeeMode: 1
; LDSByteSize: 4096 bytes/workgroup (compile time only)
; SGPRBlocks: 13
; VGPRBlocks: 10
; NumSGPRsForWavesPerEU: 106
; NumVGPRsForWavesPerEU: 86
; AccumOffset: 88
; Occupancy: 5
; WaveLimiterHint : 1
; COMPUTE_PGM_RSRC2:SCRATCH_EN: 1
; COMPUTE_PGM_RSRC2:USER_SGPR: 2
; COMPUTE_PGM_RSRC2:TRAP_HANDLER: 0
; COMPUTE_PGM_RSRC2:TGID_X_EN: 1
; COMPUTE_PGM_RSRC2:TGID_Y_EN: 0
; COMPUTE_PGM_RSRC2:TGID_Z_EN: 0
; COMPUTE_PGM_RSRC2:TIDIG_COMP_CNT: 0
; COMPUTE_PGM_RSRC3_GFX90A:ACCUM_OFFSET: 21
; COMPUTE_PGM_RSRC3_GFX90A:TG_SPLIT: 0
	.section	.text._Z27kspmm_coo_very_sparse_naiveIaLi8ELi8EEvPiS0_S0_S0_S0_P6__halfPT_S2_Pfiiii,"axG",@progbits,_Z27kspmm_coo_very_sparse_naiveIaLi8ELi8EEvPiS0_S0_S0_S0_P6__halfPT_S2_Pfiiii,comdat
